;; amdgpu-corpus repo=zjin-lcf/HeCBench kind=compiled arch=gfx950 opt=O3
	.amdgcn_target "amdgcn-amd-amdhsa--gfx950"
	.amdhsa_code_object_version 6
	.text
	.protected	_Z17kernel_find_indexPKfS0_S0_S0_PfS1_i ; -- Begin function _Z17kernel_find_indexPKfS0_S0_S0_PfS1_i
	.globl	_Z17kernel_find_indexPKfS0_S0_S0_PfS1_i
	.p2align	8
	.type	_Z17kernel_find_indexPKfS0_S0_S0_PfS1_i,@function
_Z17kernel_find_indexPKfS0_S0_S0_PfS1_i: ; @_Z17kernel_find_indexPKfS0_S0_S0_PfS1_i
; %bb.0:
	s_load_dword s3, s[0:1], 0x44
	s_load_dword s12, s[0:1], 0x30
	s_waitcnt lgkmcnt(0)
	s_and_b32 s3, s3, 0xffff
	s_mul_i32 s2, s2, s3
	v_add_u32_e32 v0, s2, v0
	v_cmp_gt_i32_e32 vcc, s12, v0
	s_and_saveexec_b64 s[2:3], vcc
	s_cbranch_execz .LBB0_9
; %bb.1:
	s_cmp_lt_i32 s12, 1
	v_ashrrev_i32_e32 v1, 31, v0
	s_cbranch_scc1 .LBB0_7
; %bb.2:
	s_load_dwordx4 s[4:7], s[0:1], 0x10
	s_mov_b32 s10, 0
	s_mov_b64 s[2:3], 0
	s_waitcnt lgkmcnt(0)
	v_lshl_add_u64 v[2:3], v[0:1], 2, s[6:7]
	global_load_dword v2, v[2:3], off
                                        ; implicit-def: $sgpr6_sgpr7
	s_branch .LBB0_4
.LBB0_3:                                ;   in Loop: Header=BB0_4 Depth=1
	s_or_b64 exec, exec, s[8:9]
	s_and_b64 s[8:9], exec, s[6:7]
	s_or_b64 s[2:3], s[8:9], s[2:3]
	s_andn2_b64 exec, exec, s[2:3]
	s_cbranch_execz .LBB0_6
.LBB0_4:                                ; =>This Inner Loop Header: Depth=1
	s_load_dword s8, s[4:5], 0x0
	v_mov_b32_e32 v3, s10
	s_or_b64 s[6:7], s[6:7], exec
	s_waitcnt vmcnt(0) lgkmcnt(0)
	v_cmp_nge_f32_e32 vcc, s8, v2
	s_and_saveexec_b64 s[8:9], vcc
	s_cbranch_execz .LBB0_3
; %bb.5:                                ;   in Loop: Header=BB0_4 Depth=1
	s_add_i32 s10, s10, 1
	s_add_u32 s4, s4, 4
	s_addc_u32 s5, s5, 0
	s_cmp_eq_u32 s12, s10
	s_cselect_b64 s[14:15], -1, 0
	s_andn2_b64 s[6:7], s[6:7], exec
	s_and_b64 s[14:15], s[14:15], exec
	v_mov_b32_e32 v3, -1
	s_or_b64 s[6:7], s[6:7], s[14:15]
	s_branch .LBB0_3
.LBB0_6:
	s_or_b64 exec, exec, s[2:3]
	s_branch .LBB0_8
.LBB0_7:
	v_mov_b32_e32 v3, -1
.LBB0_8:
	s_load_dwordx4 s[8:11], s[0:1], 0x0
	s_load_dwordx4 s[4:7], s[0:1], 0x20
	s_add_i32 s0, s12, -1
	v_mov_b32_e32 v2, s0
	v_cmp_eq_u32_e32 vcc, -1, v3
	v_lshlrev_b64 v[0:1], 2, v[0:1]
	s_nop 0
	v_cndmask_b32_e32 v2, v3, v2, vcc
	v_ashrrev_i32_e32 v3, 31, v2
	v_lshlrev_b64 v[2:3], 2, v[2:3]
	s_waitcnt lgkmcnt(0)
	v_lshl_add_u64 v[4:5], s[8:9], 0, v[2:3]
	global_load_dword v4, v[4:5], off
	v_lshl_add_u64 v[2:3], s[10:11], 0, v[2:3]
	global_load_dword v5, v[2:3], off
	v_lshl_add_u64 v[2:3], s[4:5], 0, v[0:1]
	v_lshl_add_u64 v[0:1], s[6:7], 0, v[0:1]
	s_waitcnt vmcnt(1)
	global_store_dword v[2:3], v4, off
	s_waitcnt vmcnt(1)
	global_store_dword v[0:1], v5, off
.LBB0_9:
	s_endpgm
	.section	.rodata,"a",@progbits
	.p2align	6, 0x0
	.amdhsa_kernel _Z17kernel_find_indexPKfS0_S0_S0_PfS1_i
		.amdhsa_group_segment_fixed_size 0
		.amdhsa_private_segment_fixed_size 0
		.amdhsa_kernarg_size 312
		.amdhsa_user_sgpr_count 2
		.amdhsa_user_sgpr_dispatch_ptr 0
		.amdhsa_user_sgpr_queue_ptr 0
		.amdhsa_user_sgpr_kernarg_segment_ptr 1
		.amdhsa_user_sgpr_dispatch_id 0
		.amdhsa_user_sgpr_kernarg_preload_length 0
		.amdhsa_user_sgpr_kernarg_preload_offset 0
		.amdhsa_user_sgpr_private_segment_size 0
		.amdhsa_uses_dynamic_stack 0
		.amdhsa_enable_private_segment 0
		.amdhsa_system_sgpr_workgroup_id_x 1
		.amdhsa_system_sgpr_workgroup_id_y 0
		.amdhsa_system_sgpr_workgroup_id_z 0
		.amdhsa_system_sgpr_workgroup_info 0
		.amdhsa_system_vgpr_workitem_id 0
		.amdhsa_next_free_vgpr 6
		.amdhsa_next_free_sgpr 16
		.amdhsa_accum_offset 8
		.amdhsa_reserve_vcc 1
		.amdhsa_float_round_mode_32 0
		.amdhsa_float_round_mode_16_64 0
		.amdhsa_float_denorm_mode_32 3
		.amdhsa_float_denorm_mode_16_64 3
		.amdhsa_dx10_clamp 1
		.amdhsa_ieee_mode 1
		.amdhsa_fp16_overflow 0
		.amdhsa_tg_split 0
		.amdhsa_exception_fp_ieee_invalid_op 0
		.amdhsa_exception_fp_denorm_src 0
		.amdhsa_exception_fp_ieee_div_zero 0
		.amdhsa_exception_fp_ieee_overflow 0
		.amdhsa_exception_fp_ieee_underflow 0
		.amdhsa_exception_fp_ieee_inexact 0
		.amdhsa_exception_int_div_zero 0
	.end_amdhsa_kernel
	.text
.Lfunc_end0:
	.size	_Z17kernel_find_indexPKfS0_S0_S0_PfS1_i, .Lfunc_end0-_Z17kernel_find_indexPKfS0_S0_S0_PfS1_i
                                        ; -- End function
	.set _Z17kernel_find_indexPKfS0_S0_S0_PfS1_i.num_vgpr, 6
	.set _Z17kernel_find_indexPKfS0_S0_S0_PfS1_i.num_agpr, 0
	.set _Z17kernel_find_indexPKfS0_S0_S0_PfS1_i.numbered_sgpr, 16
	.set _Z17kernel_find_indexPKfS0_S0_S0_PfS1_i.num_named_barrier, 0
	.set _Z17kernel_find_indexPKfS0_S0_S0_PfS1_i.private_seg_size, 0
	.set _Z17kernel_find_indexPKfS0_S0_S0_PfS1_i.uses_vcc, 1
	.set _Z17kernel_find_indexPKfS0_S0_S0_PfS1_i.uses_flat_scratch, 0
	.set _Z17kernel_find_indexPKfS0_S0_S0_PfS1_i.has_dyn_sized_stack, 0
	.set _Z17kernel_find_indexPKfS0_S0_S0_PfS1_i.has_recursion, 0
	.set _Z17kernel_find_indexPKfS0_S0_S0_PfS1_i.has_indirect_call, 0
	.section	.AMDGPU.csdata,"",@progbits
; Kernel info:
; codeLenInByte = 340
; TotalNumSgprs: 22
; NumVgprs: 6
; NumAgprs: 0
; TotalNumVgprs: 6
; ScratchSize: 0
; MemoryBound: 0
; FloatMode: 240
; IeeeMode: 1
; LDSByteSize: 0 bytes/workgroup (compile time only)
; SGPRBlocks: 2
; VGPRBlocks: 0
; NumSGPRsForWavesPerEU: 22
; NumVGPRsForWavesPerEU: 6
; AccumOffset: 8
; Occupancy: 8
; WaveLimiterHint : 0
; COMPUTE_PGM_RSRC2:SCRATCH_EN: 0
; COMPUTE_PGM_RSRC2:USER_SGPR: 2
; COMPUTE_PGM_RSRC2:TRAP_HANDLER: 0
; COMPUTE_PGM_RSRC2:TGID_X_EN: 1
; COMPUTE_PGM_RSRC2:TGID_Y_EN: 0
; COMPUTE_PGM_RSRC2:TGID_Z_EN: 0
; COMPUTE_PGM_RSRC2:TIDIG_COMP_CNT: 0
; COMPUTE_PGM_RSRC3_GFX90A:ACCUM_OFFSET: 1
; COMPUTE_PGM_RSRC3_GFX90A:TG_SPLIT: 0
	.text
	.protected	_Z17kernel_likelihoodPfS_PKfS1_PiPKiS_PKhS_S2_S_iiiiii ; -- Begin function _Z17kernel_likelihoodPfS_PKfS1_PiPKiS_PKhS_S2_S_iiiiii
	.globl	_Z17kernel_likelihoodPfS_PKfS1_PiPKiS_PKhS_S2_S_iiiiii
	.p2align	8
	.type	_Z17kernel_likelihoodPfS_PKfS1_PiPKiS_PKhS_S2_S_iiiiii,@function
_Z17kernel_likelihoodPfS_PKfS1_PiPKiS_PKhS_S2_S_iiiiii: ; @_Z17kernel_likelihoodPfS_PKfS1_PiPKiS_PKhS_S2_S_iiiiii
; %bb.0:
	s_load_dwordx2 s[24:25], s[0:1], 0x50
	s_load_dwordx2 s[26:27], s[0:1], 0x40
	s_load_dword s3, s[0:1], 0x7c
	s_load_dwordx2 s[28:29], s[0:1], 0x68
	s_load_dwordx4 s[12:15], s[0:1], 0x58
	s_load_dwordx4 s[20:23], s[0:1], 0x0
	;; [unrolled: 1-line block ×3, first 2 shown]
	s_waitcnt lgkmcnt(0)
	s_and_b32 s3, s3, 0xffff
	s_mul_i32 s3, s2, s3
	v_add_u32_e32 v2, s3, v0
	v_cmp_gt_i32_e64 s[4:5], s12, v2
	v_ashrrev_i32_e32 v3, 31, v2
	s_and_saveexec_b64 s[30:31], s[4:5]
	s_cbranch_execz .LBB1_10
; %bb.1:
	s_load_dwordx2 s[6:7], s[0:1], 0x48
	s_load_dwordx4 s[8:11], s[0:1], 0x10
	v_lshlrev_b64 v[8:9], 2, v[2:3]
	s_mov_b32 s3, 0x41c64e6d
	s_waitcnt lgkmcnt(0)
	v_lshl_add_u64 v[4:5], s[6:7], 0, v[8:9]
	global_load_dword v7, v[4:5], off
	v_lshl_add_u64 v[10:11], s[8:9], 0, v[8:9]
	v_lshl_add_u64 v[12:13], s[10:11], 0, v[8:9]
	global_load_dword v6, v[10:11], off
	global_load_dword v1, v[12:13], off
	v_cvt_f32_i32_e32 v12, s12
	v_lshl_add_u64 v[10:11], s[26:27], 0, v[8:9]
	s_mov_b32 s8, 0x40000001
	s_brev_b32 s9, -2
	v_div_scale_f32 v13, s[6:7], v12, v12, 1.0
	v_rcp_f32_e32 v14, v13
	v_div_scale_f32 v8, vcc, 1.0, v12, 1.0
	s_mov_b32 s10, 0x40c90fdb
	v_fma_f32 v9, -v13, v14, 1.0
	v_fmac_f32_e32 v14, v9, v14
	v_mul_f32_e32 v15, v8, v14
	v_fma_f32 v9, -v13, v15, v8
	v_fmac_f32_e32 v15, v9, v14
	v_fma_f32 v8, -v13, v15, v8
	v_div_fmas_f32 v8, v8, v14, v15
	v_div_fixup_f32 v8, v8, v12, 1.0
	global_store_dword v[10:11], v8, off
                                        ; implicit-def: $vgpr10
                                        ; implicit-def: $vgpr11
	s_waitcnt vmcnt(3)
	v_mul_lo_u32 v7, v7, s3
	v_add_u32_e32 v7, 0x3039, v7
	v_mul_hi_i32 v9, v7, s8
	v_lshrrev_b32_e32 v13, 31, v9
	v_ashrrev_i32_e32 v9, 29, v9
	v_add_u32_e32 v9, v9, v13
	v_mul_lo_u32 v9, v9, s9
	v_sub_u32_e32 v9, v7, v9
	v_mul_lo_u32 v7, v9, s3
	v_add_u32_e32 v7, 0x3039, v7
	v_mul_hi_i32 v13, v7, s8
	v_lshrrev_b32_e32 v16, 31, v13
	v_ashrrev_i32_e32 v13, 29, v13
	v_add_u32_e32 v13, v13, v16
	v_mul_lo_u32 v13, v13, s9
	v_sub_u32_e32 v7, v7, v13
	v_cvt_f32_i32_e32 v13, v7
	s_brev_b32 s3, 18
	v_mul_f32_e32 v8, 0x30000000, v13
	v_mul_f32_e64 v8, |v8|, s10
	v_cmp_ngt_f32_e32 vcc, s3, v8
	s_and_saveexec_b64 s[6:7], vcc
	s_xor_b64 s[34:35], exec, s[6:7]
	s_cbranch_execz .LBB1_3
; %bb.2:
	v_lshrrev_b32_e32 v10, 23, v8
	v_add_u32_e32 v10, 0xffffff88, v10
	v_not_b32_e32 v11, 63
	v_cmp_lt_u32_e32 vcc, 63, v10
	s_mov_b32 s3, 0xfe5163ab
	v_mov_b32_e32 v13, 0
	v_cndmask_b32_e32 v11, 0, v11, vcc
	v_add_u32_e32 v10, v11, v10
	v_not_b32_e32 v11, 31
	v_cmp_lt_u32_e64 s[6:7], 31, v10
	s_nop 1
	v_cndmask_b32_e64 v12, 0, v11, s[6:7]
	v_add_u32_e32 v10, v12, v10
	v_cmp_lt_u32_e64 s[8:9], 31, v10
	s_nop 1
	v_cndmask_b32_e64 v11, 0, v11, s[8:9]
	v_add_u32_e32 v24, v11, v10
	v_and_b32_e32 v10, 0x7fffff, v8
	v_or_b32_e32 v25, 0x800000, v10
	v_mad_u64_u32 v[10:11], s[10:11], v25, s3, 0
	v_mov_b32_e32 v12, v11
	s_mov_b32 s3, 0x3c439041
	v_mad_u64_u32 v[14:15], s[10:11], v25, s3, v[12:13]
	v_mov_b32_e32 v12, v15
	s_mov_b32 s3, 0xdb629599
	;; [unrolled: 3-line block ×6, first 2 shown]
	v_mad_u64_u32 v[12:13], s[10:11], v25, s3, v[12:13]
	v_cndmask_b32_e32 v11, v22, v18, vcc
	v_cndmask_b32_e32 v12, v12, v20, vcc
	;; [unrolled: 1-line block ×3, first 2 shown]
	v_cndmask_b32_e64 v15, v12, v11, s[6:7]
	v_cndmask_b32_e64 v12, v13, v12, s[6:7]
	v_cndmask_b32_e32 v13, v20, v16, vcc
	v_cndmask_b32_e64 v11, v11, v13, s[6:7]
	v_cndmask_b32_e32 v14, v18, v14, vcc
	v_cndmask_b32_e64 v12, v12, v15, s[8:9]
	v_cndmask_b32_e64 v15, v15, v11, s[8:9]
	v_sub_u32_e32 v17, 32, v24
	v_cndmask_b32_e64 v13, v13, v14, s[6:7]
	v_alignbit_b32 v19, v12, v15, v17
	v_cmp_eq_u32_e64 s[10:11], 0, v24
	v_cndmask_b32_e64 v11, v11, v13, s[8:9]
	v_alignbit_b32 v18, v15, v11, v17
	v_cndmask_b32_e64 v12, v19, v12, s[10:11]
	v_cndmask_b32_e32 v10, v16, v10, vcc
	v_cndmask_b32_e64 v15, v18, v15, s[10:11]
	v_bfe_u32 v20, v12, 29, 1
	v_cndmask_b32_e64 v10, v14, v10, s[6:7]
	v_alignbit_b32 v18, v12, v15, 30
	v_sub_u32_e32 v21, 0, v20
	v_cndmask_b32_e64 v10, v13, v10, s[8:9]
	v_xor_b32_e32 v18, v18, v21
	v_alignbit_b32 v13, v11, v10, v17
	v_cndmask_b32_e64 v11, v13, v11, s[10:11]
	v_ffbh_u32_e32 v14, v18
	v_alignbit_b32 v13, v15, v11, 30
	v_min_u32_e32 v14, 32, v14
	v_alignbit_b32 v10, v11, v10, 30
	v_xor_b32_e32 v13, v13, v21
	v_sub_u32_e32 v15, 31, v14
	v_xor_b32_e32 v10, v10, v21
	v_alignbit_b32 v16, v18, v13, v15
	v_alignbit_b32 v10, v13, v10, v15
	;; [unrolled: 1-line block ×3, first 2 shown]
	v_ffbh_u32_e32 v13, v11
	v_min_u32_e32 v13, 32, v13
	v_lshrrev_b32_e32 v19, 29, v12
	v_not_b32_e32 v15, v13
	v_alignbit_b32 v10, v11, v10, v15
	v_lshlrev_b32_e32 v11, 31, v19
	v_or_b32_e32 v15, 0x33000000, v11
	v_add_lshl_u32 v13, v13, v14, 23
	v_lshrrev_b32_e32 v10, 9, v10
	v_sub_u32_e32 v13, v15, v13
	v_or_b32_e32 v11, 0.5, v11
	v_lshlrev_b32_e32 v14, 23, v14
	v_or_b32_e32 v10, v13, v10
	v_lshrrev_b32_e32 v13, 9, v16
	v_sub_u32_e32 v11, v11, v14
	v_or_b32_e32 v11, v13, v11
	s_mov_b32 s3, 0x3fc90fda
	v_mul_f32_e32 v13, 0x3fc90fda, v11
	v_fma_f32 v14, v11, s3, -v13
	v_fmamk_f32 v11, v11, 0x33a22168, v14
	v_fmac_f32_e32 v11, 0x3fc90fda, v10
	v_lshrrev_b32_e32 v10, 30, v12
	v_add_f32_e32 v11, v13, v11
	v_add_u32_e32 v10, v20, v10
.LBB1_3:
	s_andn2_saveexec_b64 s[6:7], s[34:35]
; %bb.4:
	v_mul_f32_e32 v10, 0x3f22f983, v8
	v_rndne_f32_e32 v11, v10
	v_cvt_i32_f32_e32 v10, v11
	v_fmamk_f32 v12, v11, 0xbfc90fda, v8
	v_fmamk_f32 v12, v11, 0xb3a22168, v12
	;; [unrolled: 1-line block ×3, first 2 shown]
; %bb.5:
	s_or_b64 exec, exec, s[6:7]
	v_cvt_f32_i32_e32 v9, v9
	s_mov_b32 s3, 0x800000
	s_mov_b32 s8, 0x7f800000
	v_mul_f32_e32 v9, 0x30000000, v9
	v_cmp_lt_f32_e64 vcc, |v9|, s3
	s_mov_b32 s3, 0x3f317217
	s_nop 0
	v_cndmask_b32_e64 v12, 0, 32, vcc
	v_ldexp_f32 v9, |v9|, v12
	v_log_f32_e32 v9, v9
	v_mov_b32_e32 v12, 0x41b17218
	v_cndmask_b32_e32 v12, 0, v12, vcc
	v_mul_f32_e32 v13, 0x3f317217, v9
	v_fma_f32 v13, v9, s3, -v13
	v_fmamk_f32 v13, v9, 0x3377d1cf, v13
	v_fmac_f32_e32 v13, 0x3f317217, v9
	v_cmp_lt_f32_e64 s[6:7], |v9|, s8
	s_mov_b32 s3, 0xf800000
	s_nop 0
	v_cndmask_b32_e64 v9, v9, v13, s[6:7]
	v_sub_f32_e32 v9, v9, v12
	v_mul_f32_e32 v9, -2.0, v9
	v_mul_f32_e32 v12, 0x4f800000, v9
	v_cmp_gt_f32_e32 vcc, s3, v9
	s_brev_b32 s3, 1
	s_nop 0
	v_cndmask_b32_e32 v9, v9, v12, vcc
	v_sqrt_f32_e32 v14, v9
	v_lshl_add_u64 v[12:13], v[2:3], 2, s[20:21]
	v_add_u32_e32 v15, -1, v14
	v_fma_f32 v16, -v15, v14, v9
	v_cmp_ge_f32_e64 s[6:7], 0, v16
	v_add_u32_e32 v16, 1, v14
	s_nop 0
	v_cndmask_b32_e64 v15, v14, v15, s[6:7]
	v_fma_f32 v14, -v16, v14, v9
	v_cmp_lt_f32_e64 s[6:7], 0, v14
	s_nop 1
	v_cndmask_b32_e64 v14, v15, v16, s[6:7]
	v_mul_f32_e32 v15, 0x37800000, v14
	v_cndmask_b32_e32 v14, v14, v15, vcc
	v_mov_b32_e32 v15, 0x260
	v_cmp_class_f32_e32 vcc, v9, v15
	v_mov_b32_e32 v15, 0x3c0881c4
	s_mov_b32 s6, 0x40000001
	v_cndmask_b32_e32 v9, v14, v9, vcc
	v_mul_f32_e32 v14, v11, v11
	v_fmac_f32_e32 v15, 0xb94c1982, v14
	v_fmaak_f32 v15, v14, v15, 0xbe2aaa9d
	v_mul_f32_e32 v15, v14, v15
	v_fmac_f32_e32 v11, v11, v15
	v_mov_b32_e32 v15, 0xbab64f3b
	v_fmac_f32_e32 v15, 0x37d75334, v14
	v_fmaak_f32 v15, v14, v15, 0x3d2aabf7
	v_fmaak_f32 v15, v14, v15, 0xbf000004
	v_fma_f32 v14, v14, v15, 1.0
	v_and_b32_e32 v15, 1, v10
	v_cmp_eq_u32_e32 vcc, 0, v15
	v_lshlrev_b32_e32 v10, 30, v10
	s_brev_b32 s7, -2
	v_cndmask_b32_e64 v11, -v11, v14, vcc
	v_bitop3_b32 v10, v10, v11, s3 bitop3:0x6c
	s_mov_b32 s3, 0x41c64e6d
	v_mov_b32_e32 v11, 0x7fc00000
	v_cmp_lg_f32_e32 vcc, s8, v8
	v_mul_lo_u32 v7, v7, s3
	v_add_u32_e32 v7, 0x3039, v7
	v_cndmask_b32_e32 v8, v11, v10, vcc
	v_mul_f32_e32 v8, v9, v8
	v_mul_hi_i32 v9, v7, s6
	v_lshrrev_b32_e32 v10, 31, v9
	v_ashrrev_i32_e32 v9, 29, v9
	v_add_u32_e32 v9, v9, v10
	v_mul_lo_u32 v9, v9, s7
	v_sub_u32_e32 v7, v7, v9
	v_mul_lo_u32 v9, v7, s3
	v_add_u32_e32 v9, 0x3039, v9
	v_mul_hi_i32 v10, v9, s6
	v_lshrrev_b32_e32 v11, 31, v10
	v_ashrrev_i32_e32 v10, 29, v10
	v_add_u32_e32 v10, v10, v11
	v_mul_lo_u32 v10, v10, s7
	v_sub_u32_e32 v9, v9, v10
	v_cvt_f32_i32_e32 v10, v9
	v_mov_b32_e32 v16, 1.0
	v_fmamk_f32 v8, v8, 0x40a00000, v16
	s_waitcnt vmcnt(2)
	v_add_f32_e32 v6, v6, v8
	global_store_dword v[12:13], v6, off
	global_store_dword v[4:5], v9, off
	v_mul_f32_e32 v4, 0x30000000, v10
	s_mov_b32 s3, 0x40c90fdb
	v_mul_f32_e64 v4, |v4|, s3
	s_brev_b32 s3, 18
	v_cmp_ngt_f32_e32 vcc, s3, v4
                                        ; implicit-def: $vgpr5
                                        ; implicit-def: $vgpr6
	s_and_saveexec_b64 s[6:7], vcc
	s_xor_b64 s[34:35], exec, s[6:7]
	s_cbranch_execz .LBB1_7
; %bb.6:
	v_lshrrev_b32_e32 v5, 23, v4
	v_add_u32_e32 v5, 0xffffff88, v5
	v_not_b32_e32 v6, 63
	v_cmp_lt_u32_e32 vcc, 63, v5
	s_mov_b32 s3, 0xfe5163ab
	v_mov_b32_e32 v11, 0
	v_cndmask_b32_e32 v6, 0, v6, vcc
	v_add_u32_e32 v5, v6, v5
	v_not_b32_e32 v6, 31
	v_cmp_lt_u32_e64 s[6:7], 31, v5
	s_nop 1
	v_cndmask_b32_e64 v8, 0, v6, s[6:7]
	v_add_u32_e32 v5, v8, v5
	v_cmp_lt_u32_e64 s[8:9], 31, v5
	s_nop 1
	v_cndmask_b32_e64 v6, 0, v6, s[8:9]
	v_add_u32_e32 v5, v6, v5
	v_and_b32_e32 v6, 0x7fffff, v4
	v_or_b32_e32 v6, 0x800000, v6
	v_mad_u64_u32 v[8:9], s[10:11], v6, s3, 0
	v_mov_b32_e32 v10, v9
	s_mov_b32 s3, 0x3c439041
	v_mad_u64_u32 v[12:13], s[10:11], v6, s3, v[10:11]
	v_mov_b32_e32 v10, v13
	s_mov_b32 s3, 0xdb629599
	;; [unrolled: 3-line block ×6, first 2 shown]
	v_mad_u64_u32 v[10:11], s[10:11], v6, s3, v[10:11]
	v_cndmask_b32_e32 v9, v20, v16, vcc
	v_cndmask_b32_e32 v6, v10, v18, vcc
	;; [unrolled: 1-line block ×3, first 2 shown]
	v_cndmask_b32_e64 v10, v6, v9, s[6:7]
	v_cndmask_b32_e64 v6, v11, v6, s[6:7]
	v_cndmask_b32_e32 v11, v18, v14, vcc
	v_cndmask_b32_e64 v9, v9, v11, s[6:7]
	v_cndmask_b32_e64 v6, v6, v10, s[8:9]
	;; [unrolled: 1-line block ×3, first 2 shown]
	v_sub_u32_e32 v13, 32, v5
	v_alignbit_b32 v15, v6, v10, v13
	v_cmp_eq_u32_e64 s[10:11], 0, v5
	v_cndmask_b32_e32 v8, v14, v8, vcc
	s_mov_b32 s3, 0x3fc90fda
	v_cndmask_b32_e64 v5, v15, v6, s[10:11]
	v_cndmask_b32_e32 v6, v16, v12, vcc
	v_cndmask_b32_e64 v11, v11, v6, s[6:7]
	v_cndmask_b32_e64 v9, v9, v11, s[8:9]
	v_alignbit_b32 v12, v10, v9, v13
	v_cndmask_b32_e64 v6, v6, v8, s[6:7]
	v_cndmask_b32_e64 v10, v12, v10, s[10:11]
	v_bfe_u32 v16, v5, 29, 1
	v_cndmask_b32_e64 v6, v11, v6, s[8:9]
	v_alignbit_b32 v12, v5, v10, 30
	v_sub_u32_e32 v17, 0, v16
	v_alignbit_b32 v8, v9, v6, v13
	v_xor_b32_e32 v12, v12, v17
	v_cndmask_b32_e64 v8, v8, v9, s[10:11]
	v_alignbit_b32 v9, v10, v8, 30
	v_ffbh_u32_e32 v10, v12
	v_min_u32_e32 v10, 32, v10
	v_alignbit_b32 v6, v8, v6, 30
	v_xor_b32_e32 v9, v9, v17
	v_sub_u32_e32 v11, 31, v10
	v_xor_b32_e32 v6, v6, v17
	v_alignbit_b32 v12, v12, v9, v11
	v_alignbit_b32 v6, v9, v6, v11
	;; [unrolled: 1-line block ×3, first 2 shown]
	v_ffbh_u32_e32 v9, v8
	v_min_u32_e32 v9, 32, v9
	v_lshrrev_b32_e32 v15, 29, v5
	v_not_b32_e32 v11, v9
	v_alignbit_b32 v6, v8, v6, v11
	v_lshlrev_b32_e32 v8, 31, v15
	v_or_b32_e32 v11, 0x33000000, v8
	v_add_lshl_u32 v9, v9, v10, 23
	v_lshrrev_b32_e32 v6, 9, v6
	v_sub_u32_e32 v9, v11, v9
	v_or_b32_e32 v8, 0.5, v8
	v_lshlrev_b32_e32 v10, 23, v10
	v_or_b32_e32 v6, v9, v6
	v_lshrrev_b32_e32 v9, 9, v12
	v_sub_u32_e32 v8, v8, v10
	v_or_b32_e32 v8, v9, v8
	v_mul_f32_e32 v9, 0x3fc90fda, v8
	v_fma_f32 v10, v8, s3, -v9
	v_fmamk_f32 v8, v8, 0x33a22168, v10
	v_fmac_f32_e32 v8, 0x3fc90fda, v6
	v_lshrrev_b32_e32 v5, 30, v5
	v_add_f32_e32 v6, v9, v8
	v_add_u32_e32 v5, v16, v5
.LBB1_7:
	s_andn2_saveexec_b64 s[6:7], s[34:35]
; %bb.8:
	v_mul_f32_e32 v5, 0x3f22f983, v4
	v_rndne_f32_e32 v6, v5
	v_cvt_i32_f32_e32 v5, v6
	v_fmamk_f32 v8, v6, 0xbfc90fda, v4
	v_fmamk_f32 v8, v6, 0xb3a22168, v8
	;; [unrolled: 1-line block ×3, first 2 shown]
; %bb.9:
	s_or_b64 exec, exec, s[6:7]
	v_cvt_f32_i32_e32 v7, v7
	s_mov_b32 s3, 0x800000
	s_mov_b32 s8, 0x7f800000
	v_mov_b32_e32 v11, 0x3c0881c4
	v_mul_f32_e32 v7, 0x30000000, v7
	v_cmp_lt_f32_e64 vcc, |v7|, s3
	s_mov_b32 s3, 0x3f317217
	s_nop 0
	v_cndmask_b32_e64 v8, 0, 32, vcc
	v_ldexp_f32 v7, |v7|, v8
	v_log_f32_e32 v7, v7
	v_mov_b32_e32 v8, 0x41b17218
	v_cndmask_b32_e32 v8, 0, v8, vcc
	v_mul_f32_e32 v9, 0x3f317217, v7
	v_fma_f32 v9, v7, s3, -v9
	v_fmamk_f32 v9, v7, 0x3377d1cf, v9
	v_fmac_f32_e32 v9, 0x3f317217, v7
	v_cmp_lt_f32_e64 s[6:7], |v7|, s8
	s_mov_b32 s3, 0xf800000
	s_nop 0
	v_cndmask_b32_e64 v7, v7, v9, s[6:7]
	v_sub_f32_e32 v7, v7, v8
	v_mul_f32_e32 v7, -2.0, v7
	v_mul_f32_e32 v8, 0x4f800000, v7
	v_cmp_gt_f32_e32 vcc, s3, v7
	s_brev_b32 s3, 1
	s_nop 0
	v_cndmask_b32_e32 v7, v7, v8, vcc
	v_sqrt_f32_e32 v8, v7
	s_nop 0
	v_add_u32_e32 v9, -1, v8
	v_fma_f32 v10, -v9, v8, v7
	v_cmp_ge_f32_e64 s[6:7], 0, v10
	v_add_u32_e32 v10, 1, v8
	s_nop 0
	v_cndmask_b32_e64 v9, v8, v9, s[6:7]
	v_fma_f32 v8, -v10, v8, v7
	v_cmp_lt_f32_e64 s[6:7], 0, v8
	s_nop 1
	v_cndmask_b32_e64 v8, v9, v10, s[6:7]
	v_mul_f32_e32 v10, v6, v6
	v_fmac_f32_e32 v11, 0xb94c1982, v10
	v_fmaak_f32 v11, v10, v11, 0xbe2aaa9d
	v_mul_f32_e32 v11, v10, v11
	v_fmac_f32_e32 v6, v6, v11
	v_mov_b32_e32 v11, 0xbab64f3b
	v_fmac_f32_e32 v11, 0x37d75334, v10
	v_mul_f32_e32 v9, 0x37800000, v8
	v_fmaak_f32 v11, v10, v11, 0x3d2aabf7
	v_cndmask_b32_e32 v8, v8, v9, vcc
	v_mov_b32_e32 v9, 0x260
	v_fmaak_f32 v11, v10, v11, 0xbf000004
	v_cmp_class_f32_e32 vcc, v7, v9
	v_fma_f32 v10, v10, v11, 1.0
	v_and_b32_e32 v11, 1, v5
	v_cndmask_b32_e32 v7, v8, v7, vcc
	v_cmp_eq_u32_e32 vcc, 0, v11
	v_lshlrev_b32_e32 v5, 30, v5
	v_lshl_add_u64 v[8:9], v[2:3], 2, s[22:23]
	v_cndmask_b32_e64 v6, -v6, v10, vcc
	v_bitop3_b32 v5, v5, v6, s3 bitop3:0x6c
	v_mov_b32_e32 v6, 0x7fc00000
	v_cmp_lg_f32_e32 vcc, s8, v4
	s_nop 1
	v_cndmask_b32_e32 v4, v6, v5, vcc
	v_mul_f32_e32 v4, v7, v4
	v_fma_f32 v4, v4, 2.0, -2.0
	s_waitcnt vmcnt(3)
	v_add_f32_e32 v1, v1, v4
	global_store_dword v[8:9], v1, off
.LBB1_10:
	s_or_b64 exec, exec, s[30:31]
	s_load_dwordx4 s[8:11], s[0:1], 0x30
	v_mov_b32_e32 v4, 0
	s_waitcnt lgkmcnt(0)
	s_barrier
	s_and_saveexec_b64 s[0:1], s[4:5]
	s_cbranch_execz .LBB1_26
; %bb.11:
	s_cmp_gt_i32 s13, 0
	s_cbranch_scc1 .LBB1_13
; %bb.12:
	v_mov_b32_e32 v1, 0
	s_cbranch_execz .LBB1_14
	s_branch .LBB1_25
.LBB1_13:
	v_mov_b32_e32 v1, 0
.LBB1_14:
	v_lshlrev_b64 v[4:5], 2, v[2:3]
	v_lshl_add_u64 v[6:7], s[20:21], 0, v[4:5]
	v_lshl_add_u64 v[4:5], s[22:23], 0, v[4:5]
	global_load_dword v1, v[6:7], off
	s_cmp_eq_u32 s13, 1
	global_load_dword v4, v[4:5], off
	s_waitcnt vmcnt(1)
	v_cvt_i32_f32_e32 v6, v1
	s_waitcnt vmcnt(0)
	v_cvt_i32_f32_e32 v8, v4
	v_mul_lo_u32 v4, v2, s13
	s_cbranch_scc1 .LBB1_19
; %bb.15:
	s_and_b32 s4, s13, 0x7ffffffe
	v_mov_b32_e32 v1, v6
	v_mov_b32_e32 v5, v8
	s_mov_b32 s3, s14
	s_mov_b32 s5, s14
	;; [unrolled: 1-line block ×10, first 2 shown]
	v_mov_b32_e32 v10, v4
	s_mov_b32 s33, s4
	s_mov_b32 s34, 0
.LBB1_16:                               ; =>This Inner Loop Header: Depth=1
	s_lshl_b32 s6, s34, 1
	s_lshl_b32 s36, s31, 1
	s_lshl_b64 s[38:39], s[6:7], 2
	s_mov_b32 s37, s7
	s_add_u32 s38, s18, s38
	s_addc_u32 s39, s19, s39
	s_lshl_b64 s[36:37], s[36:37], 2
	s_add_u32 s36, s18, s36
	s_load_dwordx2 s[40:41], s[38:39], 0x0
	s_addc_u32 s37, s19, s37
	s_load_dwordx2 s[38:39], s[36:37], 0x0
	v_ashrrev_i32_e32 v11, 31, v10
	v_lshl_add_u64 v[12:13], v[10:11], 2, s[16:17]
	s_waitcnt lgkmcnt(0)
	v_add_u32_e32 v7, s41, v6
	v_mul_lo_u32 v7, v7, s3
	v_add_u32_e32 v9, s39, v1
	v_add3_u32 v7, s40, v8, v7
	v_mul_lo_u32 v9, v9, s5
	v_mul_lo_u32 v7, v7, s12
	v_add3_u32 v9, s38, v5, v9
	v_add_u32_e32 v7, s21, v7
	v_mul_lo_u32 v9, v9, s20
	v_sub_u32_e32 v11, 0, v7
	v_add_u32_e32 v9, s22, v9
	v_max_i32_e32 v7, v7, v11
	v_sub_u32_e32 v11, 0, v9
	v_cmp_gt_i32_e32 vcc, s23, v7
	s_add_i32 s34, s34, 2
	s_add_i32 s31, s31, 2
	v_cndmask_b32_e32 v14, 0, v7, vcc
	v_max_i32_e32 v7, v9, v11
	s_add_i32 s33, s33, -2
	v_cmp_gt_i32_e32 vcc, s30, v7
	v_add_u32_e32 v10, 2, v10
	s_cmp_lg_u32 s33, 0
	v_cndmask_b32_e32 v15, 0, v7, vcc
	global_store_dwordx2 v[12:13], v[14:15], off
	s_cbranch_scc1 .LBB1_16
; %bb.17:
	s_cmp_lg_u32 s13, s4
	s_cbranch_scc1 .LBB1_20
; %bb.18:
	v_ashrrev_i32_e32 v5, 31, v4
	s_branch .LBB1_23
.LBB1_19:
	s_mov_b32 s4, 0
	s_cbranch_execnz .LBB1_21
	s_branch .LBB1_23
.LBB1_20:
	s_cbranch_execz .LBB1_23
.LBB1_21:
	v_ashrrev_i32_e32 v5, 31, v4
	s_mov_b32 s5, 0
	s_sub_i32 s3, s13, s4
	v_lshl_add_u64 v[10:11], v[4:5], 0, s[4:5]
	s_lshl_b64 s[4:5], s[4:5], 3
	s_add_u32 s4, s18, s4
	v_lshl_add_u64 v[10:11], v[10:11], 2, s[16:17]
	s_addc_u32 s5, s19, s5
.LBB1_22:                               ; =>This Inner Loop Header: Depth=1
	s_load_dwordx2 s[6:7], s[4:5], 0x0
	s_add_i32 s3, s3, -1
	s_add_u32 s4, s4, 8
	s_addc_u32 s5, s5, 0
	s_cmp_eq_u32 s3, 0
	s_waitcnt lgkmcnt(0)
	v_add_u32_e32 v1, s7, v6
	v_mul_lo_u32 v1, v1, s14
	v_add3_u32 v1, s6, v8, v1
	v_mul_lo_u32 v1, v1, s15
	v_add_u32_e32 v1, s28, v1
	v_sub_u32_e32 v7, 0, v1
	v_max_i32_e32 v1, v1, v7
	v_cmp_gt_i32_e32 vcc, s29, v1
	s_nop 1
	v_cndmask_b32_e32 v1, 0, v1, vcc
	global_store_dword v[10:11], v1, off
	v_lshl_add_u64 v[10:11], v[10:11], 0, 4
	s_cbranch_scc0 .LBB1_22
.LBB1_23:
	v_lshl_add_u64 v[4:5], v[4:5], 2, s[16:17]
	v_mov_b32_e32 v1, 0
	v_mov_b32_e32 v6, 0xffff5c00
	s_mov_b32 s3, 0x42480000
	s_mov_b32 s4, s13
.LBB1_24:                               ; =>This Inner Loop Header: Depth=1
	global_load_dword v8, v[4:5], off
	s_add_i32 s4, s4, -1
	v_lshl_add_u64 v[4:5], v[4:5], 0, 4
	s_cmp_eq_u32 s4, 0
	s_waitcnt vmcnt(0)
	v_ashrrev_i32_e32 v9, 31, v8
	v_lshl_add_u64 v[8:9], s[10:11], 0, v[8:9]
	global_load_ubyte v7, v[8:9], off
	s_waitcnt vmcnt(0)
	v_lshl_add_u32 v7, v7, 8, v6
	v_cvt_f32_i32_e32 v7, v7
	v_div_scale_f32 v8, s[6:7], s3, s3, v7
	v_rcp_f32_e32 v9, v8
	v_div_scale_f32 v10, vcc, v7, s3, v7
	v_fma_f32 v11, -v8, v9, 1.0
	v_fmac_f32_e32 v9, v11, v9
	v_mul_f32_e32 v11, v10, v9
	v_fma_f32 v12, -v8, v11, v10
	v_fmac_f32_e32 v11, v12, v9
	v_fma_f32 v8, -v8, v11, v10
	v_div_fmas_f32 v8, v8, v9, v11
	v_div_fixup_f32 v7, v8, s3, v7
	v_add_f32_e32 v1, v1, v7
	s_cbranch_scc0 .LBB1_24
.LBB1_25:
	v_lshlrev_b64 v[2:3], 2, v[2:3]
	v_lshl_add_u64 v[6:7], s[26:27], 0, v[2:3]
	global_load_dword v4, v[6:7], off
	v_cvt_f32_i32_e32 v5, s13
	s_mov_b32 s3, 0x3fb8aa3b
	v_lshl_add_u64 v[2:3], s[8:9], 0, v[2:3]
	v_div_scale_f32 v8, s[4:5], v5, v5, v1
	v_rcp_f32_e32 v9, v8
	s_nop 0
	v_fma_f32 v10, -v8, v9, 1.0
	v_fmac_f32_e32 v9, v10, v9
	v_div_scale_f32 v10, vcc, v1, v5, v1
	v_mul_f32_e32 v11, v10, v9
	v_fma_f32 v12, -v8, v11, v10
	v_fmac_f32_e32 v11, v12, v9
	v_fma_f32 v8, -v8, v11, v10
	v_div_fmas_f32 v8, v8, v9, v11
	v_div_fixup_f32 v1, v8, v5, v1
	v_add_f32_e32 v1, 0xc3960000, v1
	v_mul_f32_e32 v5, 0x3fb8aa3b, v1
	v_fma_f32 v8, v1, s3, -v5
	v_rndne_f32_e32 v9, v5
	v_fmamk_f32 v8, v1, 0x32a5705f, v8
	v_sub_f32_e32 v5, v5, v9
	v_add_f32_e32 v5, v5, v8
	v_exp_f32_e32 v5, v5
	v_cvt_i32_f32_e32 v8, v9
	s_mov_b32 s3, 0xc2ce8ed0
	global_store_dword v[2:3], v1, off
	v_cmp_ngt_f32_e32 vcc, s3, v1
	v_ldexp_f32 v2, v5, v8
	s_mov_b32 s3, 0x42b17218
	v_cndmask_b32_e32 v2, 0, v2, vcc
	v_mov_b32_e32 v3, 0x7f800000
	v_cmp_nlt_f32_e32 vcc, s3, v1
	s_nop 1
	v_cndmask_b32_e32 v1, v3, v2, vcc
	s_waitcnt vmcnt(1)
	v_mul_f32_e32 v4, v1, v4
	global_store_dword v[6:7], v4, off
.LBB1_26:
	s_or_b64 exec, exec, s[0:1]
	s_movk_i32 s0, 0x80
	v_lshlrev_b32_e32 v1, 2, v0
	v_cmp_gt_u32_e32 vcc, s0, v0
	ds_write_b32 v1, v4
	s_waitcnt lgkmcnt(0)
	s_barrier
	s_and_saveexec_b64 s[0:1], vcc
	s_cbranch_execz .LBB1_28
; %bb.27:
	ds_read2st64_b32 v[2:3], v1 offset1:2
	s_waitcnt lgkmcnt(0)
	v_add_f32_e32 v2, v3, v2
	ds_write_b32 v1, v2
.LBB1_28:
	s_or_b64 exec, exec, s[0:1]
	v_cmp_gt_u32_e32 vcc, 64, v0
	s_waitcnt lgkmcnt(0)
	s_barrier
	s_and_saveexec_b64 s[0:1], vcc
	s_cbranch_execz .LBB1_30
; %bb.29:
	ds_read2st64_b32 v[2:3], v1 offset1:1
	s_waitcnt lgkmcnt(0)
	v_add_f32_e32 v2, v3, v2
	ds_write_b32 v1, v2
.LBB1_30:
	s_or_b64 exec, exec, s[0:1]
	v_cmp_gt_u32_e32 vcc, 32, v0
	s_waitcnt lgkmcnt(0)
	s_barrier
	s_and_saveexec_b64 s[0:1], vcc
	s_cbranch_execz .LBB1_32
; %bb.31:
	ds_read2_b32 v[2:3], v1 offset1:32
	s_waitcnt lgkmcnt(0)
	v_add_f32_e32 v2, v3, v2
	ds_write_b32 v1, v2
.LBB1_32:
	s_or_b64 exec, exec, s[0:1]
	v_cmp_gt_u32_e32 vcc, 16, v0
	s_waitcnt lgkmcnt(0)
	s_barrier
	s_and_saveexec_b64 s[0:1], vcc
	s_cbranch_execz .LBB1_34
; %bb.33:
	ds_read2_b32 v[2:3], v1 offset1:16
	s_waitcnt lgkmcnt(0)
	v_add_f32_e32 v2, v3, v2
	ds_write_b32 v1, v2
.LBB1_34:
	;; [unrolled: 12-line block ×5, first 2 shown]
	s_or_b64 exec, exec, s[0:1]
	v_cmp_eq_u32_e32 vcc, 0, v0
	s_waitcnt lgkmcnt(0)
	s_barrier
	s_and_saveexec_b64 s[0:1], vcc
	s_cbranch_execz .LBB1_42
; %bb.41:
	ds_read2_b32 v[2:3], v1 offset1:1
	s_waitcnt lgkmcnt(0)
	v_add_f32_e32 v0, v3, v2
	ds_write_b32 v1, v0
.LBB1_42:
	s_or_b64 exec, exec, s[0:1]
	s_waitcnt lgkmcnt(0)
	s_barrier
	s_and_saveexec_b64 s[0:1], vcc
	s_cbranch_execz .LBB1_44
; %bb.43:
	v_mov_b32_e32 v0, 0
	ds_read_b32 v1, v0
	s_ashr_i32 s3, s2, 31
	s_lshl_b64 s[0:1], s[2:3], 2
	s_add_u32 s0, s24, s0
	s_addc_u32 s1, s25, s1
	s_waitcnt lgkmcnt(0)
	global_store_dword v0, v1, s[0:1]
.LBB1_44:
	s_endpgm
	.section	.rodata,"a",@progbits
	.p2align	6, 0x0
	.amdhsa_kernel _Z17kernel_likelihoodPfS_PKfS1_PiPKiS_PKhS_S2_S_iiiiii
		.amdhsa_group_segment_fixed_size 1024
		.amdhsa_private_segment_fixed_size 0
		.amdhsa_kernarg_size 368
		.amdhsa_user_sgpr_count 2
		.amdhsa_user_sgpr_dispatch_ptr 0
		.amdhsa_user_sgpr_queue_ptr 0
		.amdhsa_user_sgpr_kernarg_segment_ptr 1
		.amdhsa_user_sgpr_dispatch_id 0
		.amdhsa_user_sgpr_kernarg_preload_length 0
		.amdhsa_user_sgpr_kernarg_preload_offset 0
		.amdhsa_user_sgpr_private_segment_size 0
		.amdhsa_uses_dynamic_stack 0
		.amdhsa_enable_private_segment 0
		.amdhsa_system_sgpr_workgroup_id_x 1
		.amdhsa_system_sgpr_workgroup_id_y 0
		.amdhsa_system_sgpr_workgroup_id_z 0
		.amdhsa_system_sgpr_workgroup_info 0
		.amdhsa_system_vgpr_workitem_id 0
		.amdhsa_next_free_vgpr 26
		.amdhsa_next_free_sgpr 42
		.amdhsa_accum_offset 28
		.amdhsa_reserve_vcc 1
		.amdhsa_float_round_mode_32 0
		.amdhsa_float_round_mode_16_64 0
		.amdhsa_float_denorm_mode_32 3
		.amdhsa_float_denorm_mode_16_64 3
		.amdhsa_dx10_clamp 1
		.amdhsa_ieee_mode 1
		.amdhsa_fp16_overflow 0
		.amdhsa_tg_split 0
		.amdhsa_exception_fp_ieee_invalid_op 0
		.amdhsa_exception_fp_denorm_src 0
		.amdhsa_exception_fp_ieee_div_zero 0
		.amdhsa_exception_fp_ieee_overflow 0
		.amdhsa_exception_fp_ieee_underflow 0
		.amdhsa_exception_fp_ieee_inexact 0
		.amdhsa_exception_int_div_zero 0
	.end_amdhsa_kernel
	.text
.Lfunc_end1:
	.size	_Z17kernel_likelihoodPfS_PKfS1_PiPKiS_PKhS_S2_S_iiiiii, .Lfunc_end1-_Z17kernel_likelihoodPfS_PKfS1_PiPKiS_PKhS_S2_S_iiiiii
                                        ; -- End function
	.set _Z17kernel_likelihoodPfS_PKfS1_PiPKiS_PKhS_S2_S_iiiiii.num_vgpr, 26
	.set _Z17kernel_likelihoodPfS_PKfS1_PiPKiS_PKhS_S2_S_iiiiii.num_agpr, 0
	.set _Z17kernel_likelihoodPfS_PKfS1_PiPKiS_PKhS_S2_S_iiiiii.numbered_sgpr, 42
	.set _Z17kernel_likelihoodPfS_PKfS1_PiPKiS_PKhS_S2_S_iiiiii.num_named_barrier, 0
	.set _Z17kernel_likelihoodPfS_PKfS1_PiPKiS_PKhS_S2_S_iiiiii.private_seg_size, 0
	.set _Z17kernel_likelihoodPfS_PKfS1_PiPKiS_PKhS_S2_S_iiiiii.uses_vcc, 1
	.set _Z17kernel_likelihoodPfS_PKfS1_PiPKiS_PKhS_S2_S_iiiiii.uses_flat_scratch, 0
	.set _Z17kernel_likelihoodPfS_PKfS1_PiPKiS_PKhS_S2_S_iiiiii.has_dyn_sized_stack, 0
	.set _Z17kernel_likelihoodPfS_PKfS1_PiPKiS_PKhS_S2_S_iiiiii.has_recursion, 0
	.set _Z17kernel_likelihoodPfS_PKfS1_PiPKiS_PKhS_S2_S_iiiiii.has_indirect_call, 0
	.section	.AMDGPU.csdata,"",@progbits
; Kernel info:
; codeLenInByte = 4220
; TotalNumSgprs: 48
; NumVgprs: 26
; NumAgprs: 0
; TotalNumVgprs: 26
; ScratchSize: 0
; MemoryBound: 0
; FloatMode: 240
; IeeeMode: 1
; LDSByteSize: 1024 bytes/workgroup (compile time only)
; SGPRBlocks: 5
; VGPRBlocks: 3
; NumSGPRsForWavesPerEU: 48
; NumVGPRsForWavesPerEU: 26
; AccumOffset: 28
; Occupancy: 8
; WaveLimiterHint : 1
; COMPUTE_PGM_RSRC2:SCRATCH_EN: 0
; COMPUTE_PGM_RSRC2:USER_SGPR: 2
; COMPUTE_PGM_RSRC2:TRAP_HANDLER: 0
; COMPUTE_PGM_RSRC2:TGID_X_EN: 1
; COMPUTE_PGM_RSRC2:TGID_Y_EN: 0
; COMPUTE_PGM_RSRC2:TGID_Z_EN: 0
; COMPUTE_PGM_RSRC2:TIDIG_COMP_CNT: 0
; COMPUTE_PGM_RSRC3_GFX90A:ACCUM_OFFSET: 6
; COMPUTE_PGM_RSRC3_GFX90A:TG_SPLIT: 0
	.text
	.protected	_Z24kernel_normalize_weightsPfPKfS_S_Pii ; -- Begin function _Z24kernel_normalize_weightsPfPKfS_S_Pii
	.globl	_Z24kernel_normalize_weightsPfPKfS_S_Pii
	.p2align	8
	.type	_Z24kernel_normalize_weightsPfPKfS_S_Pii,@function
_Z24kernel_normalize_weightsPfPKfS_S_Pii: ; @_Z24kernel_normalize_weightsPfPKfS_S_Pii
; %bb.0:
	s_load_dwordx2 s[12:13], s[0:1], 0x0
	s_load_dword s3, s[0:1], 0x3c
	v_cmp_eq_u32_e64 s[4:5], 0, v0
	s_and_saveexec_b64 s[6:7], s[4:5]
	s_cbranch_execz .LBB2_2
; %bb.1:
	s_load_dwordx2 s[8:9], s[0:1], 0x8
	v_mov_b32_e32 v1, 0
	s_waitcnt lgkmcnt(0)
	s_load_dword s8, s[8:9], 0x0
	s_waitcnt lgkmcnt(0)
	v_mov_b32_e32 v2, s8
	ds_write_b32 v1, v2
.LBB2_2:
	s_or_b64 exec, exec, s[6:7]
	s_load_dwordx2 s[6:7], s[0:1], 0x18
	s_load_dword s16, s[0:1], 0x28
	s_waitcnt lgkmcnt(0)
	s_and_b32 s3, 0xffff, s3
	s_mul_i32 s2, s2, s3
	v_add_u32_e32 v0, s2, v0
	v_ashrrev_i32_e32 v1, 31, v0
	v_cmp_gt_i32_e64 s[2:3], s16, v0
	s_barrier
	s_and_saveexec_b64 s[8:9], s[2:3]
	s_cbranch_execz .LBB2_4
; %bb.3:
	v_lshl_add_u64 v[2:3], v[0:1], 2, s[12:13]
	global_load_dword v4, v[2:3], off
	v_mov_b32_e32 v5, 0
	ds_read_b32 v5, v5
	s_waitcnt vmcnt(0) lgkmcnt(0)
	v_div_scale_f32 v6, s[10:11], v5, v5, v4
	v_rcp_f32_e32 v7, v6
	v_div_scale_f32 v8, vcc, v4, v5, v4
	v_fma_f32 v9, -v6, v7, 1.0
	v_fmac_f32_e32 v7, v9, v7
	v_mul_f32_e32 v9, v8, v7
	v_fma_f32 v10, -v6, v9, v8
	v_fmac_f32_e32 v9, v10, v7
	v_fma_f32 v6, -v6, v9, v8
	v_div_fmas_f32 v6, v6, v7, v9
	v_div_fixup_f32 v4, v6, v5, v4
	global_store_dword v[2:3], v4, off
.LBB2_4:
	s_or_b64 exec, exec, s[8:9]
	v_cmp_eq_u32_e32 vcc, 0, v0
	s_barrier
	s_and_saveexec_b64 s[8:9], vcc
	s_cbranch_execz .LBB2_13
; %bb.5:
	v_mov_b32_e32 v2, 0
	global_load_dword v3, v2, s[12:13]
	s_load_dwordx2 s[14:15], s[0:1], 0x10
	s_load_dwordx2 s[10:11], s[0:1], 0x20
	s_cmp_lt_i32 s16, 2
	s_waitcnt vmcnt(0) lgkmcnt(0)
	global_store_dword v2, v3, s[14:15]
	s_cbranch_scc1 .LBB2_8
; %bb.6:
	s_add_i32 s17, s16, -1
	s_add_u32 s0, s14, 4
	s_addc_u32 s1, s15, 0
	s_add_u32 s12, s12, 4
	s_addc_u32 s13, s13, 0
.LBB2_7:                                ; =>This Inner Loop Header: Depth=1
	global_load_dword v4, v2, s[12:13]
	s_add_i32 s17, s17, -1
	s_waitcnt vmcnt(0)
	v_add_f32_e32 v3, v4, v3
	global_store_dword v2, v3, s[0:1]
	s_add_u32 s0, s0, 4
	s_addc_u32 s1, s1, 0
	s_add_u32 s12, s12, 4
	s_addc_u32 s13, s13, 0
	s_cmp_eq_u32 s17, 0
	s_cbranch_scc0 .LBB2_7
.LBB2_8:
	s_load_dword s0, s[10:11], 0x0
	s_mov_b32 s1, 0x40c90fdb
	s_waitcnt lgkmcnt(0)
	s_mul_i32 s0, s0, 0x41c64e6d
	s_addk_i32 s0, 0x3039
	s_mul_hi_i32 s12, s0, 0x40000001
	s_lshr_b32 s13, s12, 31
	s_ashr_i32 s12, s12, 29
	s_add_i32 s12, s12, s13
	s_mul_i32 s12, s12, 0x7fffffff
	s_sub_i32 s12, s0, s12
	s_mul_i32 s0, s12, 0x41c64e6d
	s_addk_i32 s0, 0x3039
	s_mul_hi_i32 s13, s0, 0x40000001
	s_lshr_b32 s14, s13, 31
	s_ashr_i32 s13, s13, 29
	s_add_i32 s13, s13, s14
	s_mul_i32 s13, s13, 0x7fffffff
	s_sub_i32 s0, s0, s13
	v_cvt_f32_i32_e32 v3, s0
	v_mov_b32_e32 v4, s0
	global_store_dword v2, v4, s[10:11]
	s_brev_b32 s13, 18
	v_mul_f32_e32 v2, 0x30000000, v3
	v_mul_f32_e64 v2, |v2|, s1
	v_cmp_ngt_f32_e32 vcc, s13, v2
	v_readfirstlane_b32 s10, v2
	s_cbranch_vccz .LBB2_10
; %bb.9:
	s_and_b32 s1, s10, 0x7fffff
	s_lshr_b32 s0, s10, 23
	s_bitset1_b32 s1, 23
	s_addk_i32 s0, 0xff88
	s_mul_hi_u32 s11, s1, 0xfe5163ab
	s_mul_i32 s14, s1, 0x3c439041
	s_mul_hi_u32 s13, s1, 0x3c439041
	s_add_u32 s11, s11, s14
	s_addc_u32 s13, 0, s13
	s_mul_i32 s15, s1, 0xdb629599
	s_mul_hi_u32 s14, s1, 0xdb629599
	s_add_u32 s13, s13, s15
	s_addc_u32 s14, 0, s14
	;; [unrolled: 4-line block ×5, first 2 shown]
	s_cmp_gt_u32 s0, 63
	s_mul_i32 s19, s1, 0xfe5163ab
	s_mul_hi_u32 s20, s1, 0xa2f9836e
	s_mul_i32 s1, s1, 0xa2f9836e
	s_cselect_b32 s21, s13, s15
	s_cselect_b32 s11, s11, s14
	;; [unrolled: 1-line block ×3, first 2 shown]
	s_add_u32 s1, s18, s1
	s_addc_u32 s18, 0, s20
	s_cmp_gt_u32 s0, 63
	s_cselect_b32 s19, 0xffffffc0, 0
	s_cselect_b32 s14, s14, s17
	;; [unrolled: 1-line block ×4, first 2 shown]
	s_add_i32 s19, s19, s0
	s_cmp_gt_u32 s19, 31
	s_cselect_b32 s0, 0xffffffe0, 0
	s_cselect_b32 s17, s14, s1
	;; [unrolled: 1-line block ×6, first 2 shown]
	s_add_i32 s0, s0, s19
	s_cmp_gt_u32 s0, 31
	s_cselect_b32 s13, 0xffffffe0, 0
	s_cselect_b32 s1, s17, s1
	;; [unrolled: 1-line block ×5, first 2 shown]
	s_add_i32 s13, s13, s0
	s_sub_i32 s0, 32, s13
	s_cmp_eq_u32 s13, 0
	v_mov_b32_e32 v2, s17
	v_mov_b32_e32 v3, s0
	v_alignbit_b32 v4, s1, v2, v3
	v_mov_b32_e32 v5, s1
	s_cselect_b64 vcc, -1, 0
	v_cndmask_b32_e32 v4, v4, v5, vcc
	v_mov_b32_e32 v5, s14
	v_alignbit_b32 v6, s17, v5, v3
	v_mov_b32_e32 v7, s11
	v_cndmask_b32_e32 v2, v6, v2, vcc
	v_alignbit_b32 v3, s14, v7, v3
	v_bfe_u32 v7, v4, 29, 1
	v_alignbit_b32 v6, v4, v2, 30
	v_sub_u32_e32 v8, 0, v7
	v_xor_b32_e32 v6, v6, v8
	v_cndmask_b32_e32 v3, v3, v5, vcc
	v_ffbh_u32_e32 v9, v6
	v_alignbit_b32 v2, v2, v3, 30
	v_min_u32_e32 v9, 32, v9
	v_alignbit_b32 v3, v3, s11, 30
	v_xor_b32_e32 v2, v2, v8
	v_sub_u32_e32 v10, 31, v9
	v_xor_b32_e32 v3, v3, v8
	v_alignbit_b32 v6, v6, v2, v10
	v_alignbit_b32 v2, v2, v3, v10
	;; [unrolled: 1-line block ×3, first 2 shown]
	v_ffbh_u32_e32 v8, v3
	v_min_u32_e32 v8, 32, v8
	v_lshrrev_b32_e32 v5, 29, v4
	v_not_b32_e32 v10, v8
	v_alignbit_b32 v2, v3, v2, v10
	v_add_u32_e32 v3, v8, v9
	v_lshlrev_b32_e32 v5, 31, v5
	v_or_b32_e32 v8, 0x33000000, v5
	v_lshlrev_b32_e32 v3, 23, v3
	v_lshrrev_b32_e32 v2, 9, v2
	v_sub_u32_e32 v3, v8, v3
	v_or_b32_e32 v2, v3, v2
	v_lshrrev_b32_e32 v3, 9, v6
	v_or_b32_e32 v5, 0.5, v5
	v_lshlrev_b32_e32 v6, 23, v9
	v_sub_u32_e32 v5, v5, v6
	v_or_b32_e32 v3, v3, v5
	s_mov_b32 s0, 0x3fc90fda
	v_mul_f32_e32 v5, 0x3fc90fda, v3
	v_fma_f32 v6, v3, s0, -v5
	v_fmamk_f32 v3, v3, 0x33a22168, v6
	v_fmac_f32_e32 v3, 0x3fc90fda, v2
	v_lshrrev_b32_e32 v2, 30, v4
	v_add_f32_e32 v3, v5, v3
	v_add_u32_e32 v2, v7, v2
	s_cbranch_execz .LBB2_11
	s_branch .LBB2_12
.LBB2_10:
                                        ; implicit-def: $vgpr2
                                        ; implicit-def: $vgpr3
.LBB2_11:
	v_mov_b32_e32 v2, 0x3f22f983
	v_mul_f32_e32 v2, s10, v2
	v_rndne_f32_e32 v3, v2
	v_mov_b32_e32 v4, s10
	v_cvt_i32_f32_e32 v2, v3
	v_fmamk_f32 v4, v3, 0xbfc90fda, v4
	v_fmamk_f32 v4, v3, 0xb3a22168, v4
	;; [unrolled: 1-line block ×3, first 2 shown]
.LBB2_12:
	v_cvt_f32_i32_e32 v4, s16
	v_cvt_f32_i32_e32 v5, s12
	s_mov_b32 s11, 0x800000
	v_mov_b32_e32 v11, 0x41b17218
	v_div_scale_f32 v6, s[0:1], v4, v4, 1.0
	v_rcp_f32_e32 v7, v6
	v_mul_f32_e32 v5, 0x30000000, v5
	v_cmp_lt_f32_e64 s[0:1], |v5|, s11
	v_div_scale_f32 v8, vcc, 1.0, v4, 1.0
	s_nop 0
	v_cndmask_b32_e64 v11, 0, v11, s[0:1]
	s_and_b64 s[0:1], s[0:1], exec
	s_cselect_b32 s0, 32, 0
	v_fma_f32 v9, -v6, v7, 1.0
	v_ldexp_f32 v5, |v5|, s0
	v_fmac_f32_e32 v7, v9, v7
	v_log_f32_e32 v5, v5
	v_mul_f32_e32 v9, v8, v7
	v_fma_f32 v10, -v6, v9, v8
	v_fmac_f32_e32 v9, v10, v7
	v_fma_f32 v6, -v6, v9, v8
	s_mov_b32 s0, 0x3f317217
	v_mul_f32_e32 v8, 0x3f317217, v5
	v_fma_f32 v8, v5, s0, -v8
	v_fmamk_f32 v8, v5, 0x3377d1cf, v8
	s_mov_b32 s0, 0x7f800000
	v_fmac_f32_e32 v8, 0x3f317217, v5
	v_cmp_lt_f32_e64 s[0:1], |v5|, s0
	v_div_fmas_f32 v6, v6, v7, v9
	v_div_fixup_f32 v4, v6, v4, 1.0
	v_cndmask_b32_e64 v5, v5, v8, s[0:1]
	v_sub_f32_e32 v5, v5, v11
	v_mul_f32_e32 v5, -2.0, v5
	s_mov_b32 s0, 0xf800000
	v_mul_f32_e32 v8, 0x4f800000, v5
	v_cmp_gt_f32_e64 s[0:1], s0, v5
	s_nop 1
	v_cndmask_b32_e64 v5, v5, v8, s[0:1]
	v_sqrt_f32_e32 v8, v5
	s_nop 0
	v_add_u32_e32 v6, -1, v8
	v_fma_f32 v7, -v6, v8, v5
	v_cmp_ge_f32_e32 vcc, 0, v7
	v_add_u32_e32 v7, 1, v8
	s_nop 0
	v_cndmask_b32_e32 v6, v8, v6, vcc
	v_fma_f32 v8, -v7, v8, v5
	v_cmp_lt_f32_e32 vcc, 0, v8
	s_nop 1
	v_cndmask_b32_e32 v6, v6, v7, vcc
	v_mul_f32_e32 v7, 0x37800000, v6
	v_cndmask_b32_e64 v6, v6, v7, s[0:1]
	v_mov_b32_e32 v7, 0x260
	v_cmp_class_f32_e32 vcc, v5, v7
	v_mov_b32_e32 v7, 0x3c0881c4
	s_nop 0
	v_cndmask_b32_e32 v5, v6, v5, vcc
	v_mul_f32_e32 v6, v3, v3
	v_fmac_f32_e32 v7, 0xb94c1982, v6
	v_fmaak_f32 v7, v6, v7, 0xbe2aaa9d
	v_mul_f32_e32 v7, v6, v7
	v_fmac_f32_e32 v3, v3, v7
	v_mov_b32_e32 v7, 0xbab64f3b
	v_fmac_f32_e32 v7, 0x37d75334, v6
	v_fmaak_f32 v7, v6, v7, 0x3d2aabf7
	v_fmaak_f32 v7, v6, v7, 0xbf000004
	v_fma_f32 v6, v6, v7, 1.0
	v_and_b32_e32 v7, 1, v2
	v_cmp_eq_u32_e32 vcc, 0, v7
	v_lshlrev_b32_e32 v2, 30, v2
	v_and_b32_e32 v2, 0x80000000, v2
	v_cndmask_b32_e64 v3, -v3, v6, vcc
	v_xor_b32_e32 v2, v2, v3
	v_mov_b32_e32 v3, 0x7f800000
	v_mov_b32_e32 v6, 0x7fc00000
	v_cmp_lg_f32_e32 vcc, s10, v3
	v_mov_b32_e32 v3, 0
	s_nop 0
	v_cndmask_b32_e32 v2, v6, v2, vcc
	v_mul_f32_e32 v2, v5, v2
	v_mul_f32_e32 v2, v4, v2
	global_store_dword v3, v2, s[6:7]
.LBB2_13:
	s_or_b64 exec, exec, s[8:9]
	s_barrier
	s_and_saveexec_b64 s[0:1], s[4:5]
	s_cbranch_execz .LBB2_15
; %bb.14:
	v_mov_b32_e32 v2, 0
	global_load_dword v3, v2, s[6:7]
	s_waitcnt vmcnt(0)
	ds_write_b32 v2, v3 offset:4
.LBB2_15:
	s_or_b64 exec, exec, s[0:1]
	s_waitcnt lgkmcnt(0)
	s_barrier
	s_and_saveexec_b64 s[0:1], s[2:3]
	s_cbranch_execz .LBB2_17
; %bb.16:
	v_cvt_f32_i32_e32 v2, v0
	v_cvt_f32_i32_e32 v3, s16
	v_mov_b32_e32 v4, 0
	ds_read_b32 v4, v4 offset:4
	v_lshl_add_u64 v[0:1], v[0:1], 2, s[6:7]
	v_div_scale_f32 v5, s[0:1], v3, v3, v2
	v_rcp_f32_e32 v6, v5
	v_div_scale_f32 v7, vcc, v2, v3, v2
	v_fma_f32 v8, -v5, v6, 1.0
	v_fmac_f32_e32 v6, v8, v6
	v_mul_f32_e32 v8, v7, v6
	v_fma_f32 v9, -v5, v8, v7
	v_fmac_f32_e32 v8, v9, v6
	v_fma_f32 v5, -v5, v8, v7
	v_div_fmas_f32 v5, v5, v6, v8
	v_div_fixup_f32 v2, v5, v3, v2
	s_waitcnt lgkmcnt(0)
	v_add_f32_e32 v2, v2, v4
	global_store_dword v[0:1], v2, off
.LBB2_17:
	s_endpgm
	.section	.rodata,"a",@progbits
	.p2align	6, 0x0
	.amdhsa_kernel _Z24kernel_normalize_weightsPfPKfS_S_Pii
		.amdhsa_group_segment_fixed_size 8
		.amdhsa_private_segment_fixed_size 0
		.amdhsa_kernarg_size 304
		.amdhsa_user_sgpr_count 2
		.amdhsa_user_sgpr_dispatch_ptr 0
		.amdhsa_user_sgpr_queue_ptr 0
		.amdhsa_user_sgpr_kernarg_segment_ptr 1
		.amdhsa_user_sgpr_dispatch_id 0
		.amdhsa_user_sgpr_kernarg_preload_length 0
		.amdhsa_user_sgpr_kernarg_preload_offset 0
		.amdhsa_user_sgpr_private_segment_size 0
		.amdhsa_uses_dynamic_stack 0
		.amdhsa_enable_private_segment 0
		.amdhsa_system_sgpr_workgroup_id_x 1
		.amdhsa_system_sgpr_workgroup_id_y 0
		.amdhsa_system_sgpr_workgroup_id_z 0
		.amdhsa_system_sgpr_workgroup_info 0
		.amdhsa_system_vgpr_workitem_id 0
		.amdhsa_next_free_vgpr 12
		.amdhsa_next_free_sgpr 22
		.amdhsa_accum_offset 12
		.amdhsa_reserve_vcc 1
		.amdhsa_float_round_mode_32 0
		.amdhsa_float_round_mode_16_64 0
		.amdhsa_float_denorm_mode_32 3
		.amdhsa_float_denorm_mode_16_64 3
		.amdhsa_dx10_clamp 1
		.amdhsa_ieee_mode 1
		.amdhsa_fp16_overflow 0
		.amdhsa_tg_split 0
		.amdhsa_exception_fp_ieee_invalid_op 0
		.amdhsa_exception_fp_denorm_src 0
		.amdhsa_exception_fp_ieee_div_zero 0
		.amdhsa_exception_fp_ieee_overflow 0
		.amdhsa_exception_fp_ieee_underflow 0
		.amdhsa_exception_fp_ieee_inexact 0
		.amdhsa_exception_int_div_zero 0
	.end_amdhsa_kernel
	.text
.Lfunc_end2:
	.size	_Z24kernel_normalize_weightsPfPKfS_S_Pii, .Lfunc_end2-_Z24kernel_normalize_weightsPfPKfS_S_Pii
                                        ; -- End function
	.set _Z24kernel_normalize_weightsPfPKfS_S_Pii.num_vgpr, 12
	.set _Z24kernel_normalize_weightsPfPKfS_S_Pii.num_agpr, 0
	.set _Z24kernel_normalize_weightsPfPKfS_S_Pii.numbered_sgpr, 22
	.set _Z24kernel_normalize_weightsPfPKfS_S_Pii.num_named_barrier, 0
	.set _Z24kernel_normalize_weightsPfPKfS_S_Pii.private_seg_size, 0
	.set _Z24kernel_normalize_weightsPfPKfS_S_Pii.uses_vcc, 1
	.set _Z24kernel_normalize_weightsPfPKfS_S_Pii.uses_flat_scratch, 0
	.set _Z24kernel_normalize_weightsPfPKfS_S_Pii.has_dyn_sized_stack, 0
	.set _Z24kernel_normalize_weightsPfPKfS_S_Pii.has_recursion, 0
	.set _Z24kernel_normalize_weightsPfPKfS_S_Pii.has_indirect_call, 0
	.section	.AMDGPU.csdata,"",@progbits
; Kernel info:
; codeLenInByte = 1852
; TotalNumSgprs: 28
; NumVgprs: 12
; NumAgprs: 0
; TotalNumVgprs: 12
; ScratchSize: 0
; MemoryBound: 0
; FloatMode: 240
; IeeeMode: 1
; LDSByteSize: 8 bytes/workgroup (compile time only)
; SGPRBlocks: 3
; VGPRBlocks: 1
; NumSGPRsForWavesPerEU: 28
; NumVGPRsForWavesPerEU: 12
; AccumOffset: 12
; Occupancy: 8
; WaveLimiterHint : 0
; COMPUTE_PGM_RSRC2:SCRATCH_EN: 0
; COMPUTE_PGM_RSRC2:USER_SGPR: 2
; COMPUTE_PGM_RSRC2:TRAP_HANDLER: 0
; COMPUTE_PGM_RSRC2:TGID_X_EN: 1
; COMPUTE_PGM_RSRC2:TGID_Y_EN: 0
; COMPUTE_PGM_RSRC2:TGID_Z_EN: 0
; COMPUTE_PGM_RSRC2:TIDIG_COMP_CNT: 0
; COMPUTE_PGM_RSRC3_GFX90A:ACCUM_OFFSET: 2
; COMPUTE_PGM_RSRC3_GFX90A:TG_SPLIT: 0
	.text
	.protected	_Z10kernel_sumPfi       ; -- Begin function _Z10kernel_sumPfi
	.globl	_Z10kernel_sumPfi
	.p2align	8
	.type	_Z10kernel_sumPfi,@function
_Z10kernel_sumPfi:                      ; @_Z10kernel_sumPfi
; %bb.0:
	s_load_dword s4, s[0:1], 0x8
	s_load_dwordx2 s[2:3], s[0:1], 0x0
	s_waitcnt lgkmcnt(0)
	s_cmp_lt_i32 s4, 1
	s_cbranch_scc1 .LBB3_4
; %bb.1:
	s_addk_i32 s4, 0xff
	s_lshr_b32 s4, s4, 8
	v_mov_b32_e32 v0, 0
	s_mov_b64 s[0:1], s[2:3]
.LBB3_2:                                ; =>This Inner Loop Header: Depth=1
	s_load_dword s5, s[0:1], 0x0
	s_add_i32 s4, s4, -1
	s_add_u32 s0, s0, 4
	s_addc_u32 s1, s1, 0
	s_cmp_lg_u32 s4, 0
	s_waitcnt lgkmcnt(0)
	v_add_f32_e32 v0, s5, v0
	s_cbranch_scc1 .LBB3_2
; %bb.3:
	v_mov_b32_e32 v1, 0
	global_store_dword v1, v0, s[2:3]
	s_endpgm
.LBB3_4:
	v_mov_b32_e32 v0, 0
	v_mov_b32_e32 v1, 0
	global_store_dword v1, v0, s[2:3]
	s_endpgm
	.section	.rodata,"a",@progbits
	.p2align	6, 0x0
	.amdhsa_kernel _Z10kernel_sumPfi
		.amdhsa_group_segment_fixed_size 0
		.amdhsa_private_segment_fixed_size 0
		.amdhsa_kernarg_size 12
		.amdhsa_user_sgpr_count 2
		.amdhsa_user_sgpr_dispatch_ptr 0
		.amdhsa_user_sgpr_queue_ptr 0
		.amdhsa_user_sgpr_kernarg_segment_ptr 1
		.amdhsa_user_sgpr_dispatch_id 0
		.amdhsa_user_sgpr_kernarg_preload_length 0
		.amdhsa_user_sgpr_kernarg_preload_offset 0
		.amdhsa_user_sgpr_private_segment_size 0
		.amdhsa_uses_dynamic_stack 0
		.amdhsa_enable_private_segment 0
		.amdhsa_system_sgpr_workgroup_id_x 1
		.amdhsa_system_sgpr_workgroup_id_y 0
		.amdhsa_system_sgpr_workgroup_id_z 0
		.amdhsa_system_sgpr_workgroup_info 0
		.amdhsa_system_vgpr_workitem_id 0
		.amdhsa_next_free_vgpr 2
		.amdhsa_next_free_sgpr 6
		.amdhsa_accum_offset 4
		.amdhsa_reserve_vcc 0
		.amdhsa_float_round_mode_32 0
		.amdhsa_float_round_mode_16_64 0
		.amdhsa_float_denorm_mode_32 3
		.amdhsa_float_denorm_mode_16_64 3
		.amdhsa_dx10_clamp 1
		.amdhsa_ieee_mode 1
		.amdhsa_fp16_overflow 0
		.amdhsa_tg_split 0
		.amdhsa_exception_fp_ieee_invalid_op 0
		.amdhsa_exception_fp_denorm_src 0
		.amdhsa_exception_fp_ieee_div_zero 0
		.amdhsa_exception_fp_ieee_overflow 0
		.amdhsa_exception_fp_ieee_underflow 0
		.amdhsa_exception_fp_ieee_inexact 0
		.amdhsa_exception_int_div_zero 0
	.end_amdhsa_kernel
	.text
.Lfunc_end3:
	.size	_Z10kernel_sumPfi, .Lfunc_end3-_Z10kernel_sumPfi
                                        ; -- End function
	.set _Z10kernel_sumPfi.num_vgpr, 2
	.set _Z10kernel_sumPfi.num_agpr, 0
	.set _Z10kernel_sumPfi.numbered_sgpr, 6
	.set _Z10kernel_sumPfi.num_named_barrier, 0
	.set _Z10kernel_sumPfi.private_seg_size, 0
	.set _Z10kernel_sumPfi.uses_vcc, 0
	.set _Z10kernel_sumPfi.uses_flat_scratch, 0
	.set _Z10kernel_sumPfi.has_dyn_sized_stack, 0
	.set _Z10kernel_sumPfi.has_recursion, 0
	.set _Z10kernel_sumPfi.has_indirect_call, 0
	.section	.AMDGPU.csdata,"",@progbits
; Kernel info:
; codeLenInByte = 116
; TotalNumSgprs: 12
; NumVgprs: 2
; NumAgprs: 0
; TotalNumVgprs: 2
; ScratchSize: 0
; MemoryBound: 0
; FloatMode: 240
; IeeeMode: 1
; LDSByteSize: 0 bytes/workgroup (compile time only)
; SGPRBlocks: 1
; VGPRBlocks: 0
; NumSGPRsForWavesPerEU: 12
; NumVGPRsForWavesPerEU: 2
; AccumOffset: 4
; Occupancy: 8
; WaveLimiterHint : 0
; COMPUTE_PGM_RSRC2:SCRATCH_EN: 0
; COMPUTE_PGM_RSRC2:USER_SGPR: 2
; COMPUTE_PGM_RSRC2:TRAP_HANDLER: 0
; COMPUTE_PGM_RSRC2:TGID_X_EN: 1
; COMPUTE_PGM_RSRC2:TGID_Y_EN: 0
; COMPUTE_PGM_RSRC2:TGID_Z_EN: 0
; COMPUTE_PGM_RSRC2:TIDIG_COMP_CNT: 0
; COMPUTE_PGM_RSRC3_GFX90A:ACCUM_OFFSET: 0
; COMPUTE_PGM_RSRC3_GFX90A:TG_SPLIT: 0
	.text
	.p2alignl 6, 3212836864
	.fill 256, 4, 3212836864
	.section	.AMDGPU.gpr_maximums,"",@progbits
	.set amdgpu.max_num_vgpr, 0
	.set amdgpu.max_num_agpr, 0
	.set amdgpu.max_num_sgpr, 0
	.text
	.type	__hip_cuid_70705226374d41af,@object ; @__hip_cuid_70705226374d41af
	.section	.bss,"aw",@nobits
	.globl	__hip_cuid_70705226374d41af
__hip_cuid_70705226374d41af:
	.byte	0                               ; 0x0
	.size	__hip_cuid_70705226374d41af, 1

	.ident	"AMD clang version 22.0.0git (https://github.com/RadeonOpenCompute/llvm-project roc-7.2.4 26084 f58b06dce1f9c15707c5f808fd002e18c2accf7e)"
	.section	".note.GNU-stack","",@progbits
	.addrsig
	.addrsig_sym __hip_cuid_70705226374d41af
	.amdgpu_metadata
---
amdhsa.kernels:
  - .agpr_count:     0
    .args:
      - .actual_access:  read_only
        .address_space:  global
        .offset:         0
        .size:           8
        .value_kind:     global_buffer
      - .actual_access:  read_only
        .address_space:  global
        .offset:         8
        .size:           8
        .value_kind:     global_buffer
      - .actual_access:  read_only
        .address_space:  global
        .offset:         16
        .size:           8
        .value_kind:     global_buffer
      - .actual_access:  read_only
        .address_space:  global
        .offset:         24
        .size:           8
        .value_kind:     global_buffer
      - .actual_access:  write_only
        .address_space:  global
        .offset:         32
        .size:           8
        .value_kind:     global_buffer
      - .actual_access:  write_only
        .address_space:  global
        .offset:         40
        .size:           8
        .value_kind:     global_buffer
      - .offset:         48
        .size:           4
        .value_kind:     by_value
      - .offset:         56
        .size:           4
        .value_kind:     hidden_block_count_x
      - .offset:         60
        .size:           4
        .value_kind:     hidden_block_count_y
      - .offset:         64
        .size:           4
        .value_kind:     hidden_block_count_z
      - .offset:         68
        .size:           2
        .value_kind:     hidden_group_size_x
      - .offset:         70
        .size:           2
        .value_kind:     hidden_group_size_y
      - .offset:         72
        .size:           2
        .value_kind:     hidden_group_size_z
      - .offset:         74
        .size:           2
        .value_kind:     hidden_remainder_x
      - .offset:         76
        .size:           2
        .value_kind:     hidden_remainder_y
      - .offset:         78
        .size:           2
        .value_kind:     hidden_remainder_z
      - .offset:         96
        .size:           8
        .value_kind:     hidden_global_offset_x
      - .offset:         104
        .size:           8
        .value_kind:     hidden_global_offset_y
      - .offset:         112
        .size:           8
        .value_kind:     hidden_global_offset_z
      - .offset:         120
        .size:           2
        .value_kind:     hidden_grid_dims
    .group_segment_fixed_size: 0
    .kernarg_segment_align: 8
    .kernarg_segment_size: 312
    .language:       OpenCL C
    .language_version:
      - 2
      - 0
    .max_flat_workgroup_size: 1024
    .name:           _Z17kernel_find_indexPKfS0_S0_S0_PfS1_i
    .private_segment_fixed_size: 0
    .sgpr_count:     22
    .sgpr_spill_count: 0
    .symbol:         _Z17kernel_find_indexPKfS0_S0_S0_PfS1_i.kd
    .uniform_work_group_size: 1
    .uses_dynamic_stack: false
    .vgpr_count:     6
    .vgpr_spill_count: 0
    .wavefront_size: 64
  - .agpr_count:     0
    .args:
      - .address_space:  global
        .offset:         0
        .size:           8
        .value_kind:     global_buffer
      - .address_space:  global
        .offset:         8
        .size:           8
        .value_kind:     global_buffer
      - .actual_access:  read_only
        .address_space:  global
        .offset:         16
        .size:           8
        .value_kind:     global_buffer
      - .actual_access:  read_only
        .address_space:  global
        .offset:         24
        .size:           8
        .value_kind:     global_buffer
      - .address_space:  global
        .offset:         32
        .size:           8
        .value_kind:     global_buffer
      - .actual_access:  read_only
        .address_space:  global
        .offset:         40
        .size:           8
        .value_kind:     global_buffer
      - .actual_access:  write_only
        .address_space:  global
        .offset:         48
        .size:           8
        .value_kind:     global_buffer
      - .actual_access:  read_only
        .address_space:  global
        .offset:         56
        .size:           8
        .value_kind:     global_buffer
      - .address_space:  global
        .offset:         64
        .size:           8
        .value_kind:     global_buffer
      - .address_space:  global
        .offset:         72
        .size:           8
        .value_kind:     global_buffer
      - .actual_access:  write_only
        .address_space:  global
        .offset:         80
        .size:           8
        .value_kind:     global_buffer
      - .offset:         88
        .size:           4
        .value_kind:     by_value
      - .offset:         92
        .size:           4
        .value_kind:     by_value
      - .offset:         96
        .size:           4
        .value_kind:     by_value
      - .offset:         100
        .size:           4
        .value_kind:     by_value
      - .offset:         104
        .size:           4
        .value_kind:     by_value
      - .offset:         108
        .size:           4
        .value_kind:     by_value
      - .offset:         112
        .size:           4
        .value_kind:     hidden_block_count_x
      - .offset:         116
        .size:           4
        .value_kind:     hidden_block_count_y
      - .offset:         120
        .size:           4
        .value_kind:     hidden_block_count_z
      - .offset:         124
        .size:           2
        .value_kind:     hidden_group_size_x
      - .offset:         126
        .size:           2
        .value_kind:     hidden_group_size_y
      - .offset:         128
        .size:           2
        .value_kind:     hidden_group_size_z
      - .offset:         130
        .size:           2
        .value_kind:     hidden_remainder_x
      - .offset:         132
        .size:           2
        .value_kind:     hidden_remainder_y
      - .offset:         134
        .size:           2
        .value_kind:     hidden_remainder_z
      - .offset:         152
        .size:           8
        .value_kind:     hidden_global_offset_x
      - .offset:         160
        .size:           8
        .value_kind:     hidden_global_offset_y
      - .offset:         168
        .size:           8
        .value_kind:     hidden_global_offset_z
      - .offset:         176
        .size:           2
        .value_kind:     hidden_grid_dims
    .group_segment_fixed_size: 1024
    .kernarg_segment_align: 8
    .kernarg_segment_size: 368
    .language:       OpenCL C
    .language_version:
      - 2
      - 0
    .max_flat_workgroup_size: 1024
    .name:           _Z17kernel_likelihoodPfS_PKfS1_PiPKiS_PKhS_S2_S_iiiiii
    .private_segment_fixed_size: 0
    .sgpr_count:     48
    .sgpr_spill_count: 0
    .symbol:         _Z17kernel_likelihoodPfS_PKfS1_PiPKiS_PKhS_S2_S_iiiiii.kd
    .uniform_work_group_size: 1
    .uses_dynamic_stack: false
    .vgpr_count:     26
    .vgpr_spill_count: 0
    .wavefront_size: 64
  - .agpr_count:     0
    .args:
      - .address_space:  global
        .offset:         0
        .size:           8
        .value_kind:     global_buffer
      - .actual_access:  read_only
        .address_space:  global
        .offset:         8
        .size:           8
        .value_kind:     global_buffer
      - .address_space:  global
        .offset:         16
        .size:           8
        .value_kind:     global_buffer
      - .address_space:  global
        .offset:         24
        .size:           8
        .value_kind:     global_buffer
      - .address_space:  global
        .offset:         32
        .size:           8
        .value_kind:     global_buffer
      - .offset:         40
        .size:           4
        .value_kind:     by_value
      - .offset:         48
        .size:           4
        .value_kind:     hidden_block_count_x
      - .offset:         52
        .size:           4
        .value_kind:     hidden_block_count_y
      - .offset:         56
        .size:           4
        .value_kind:     hidden_block_count_z
      - .offset:         60
        .size:           2
        .value_kind:     hidden_group_size_x
      - .offset:         62
        .size:           2
        .value_kind:     hidden_group_size_y
      - .offset:         64
        .size:           2
        .value_kind:     hidden_group_size_z
      - .offset:         66
        .size:           2
        .value_kind:     hidden_remainder_x
      - .offset:         68
        .size:           2
        .value_kind:     hidden_remainder_y
      - .offset:         70
        .size:           2
        .value_kind:     hidden_remainder_z
      - .offset:         88
        .size:           8
        .value_kind:     hidden_global_offset_x
      - .offset:         96
        .size:           8
        .value_kind:     hidden_global_offset_y
      - .offset:         104
        .size:           8
        .value_kind:     hidden_global_offset_z
      - .offset:         112
        .size:           2
        .value_kind:     hidden_grid_dims
    .group_segment_fixed_size: 8
    .kernarg_segment_align: 8
    .kernarg_segment_size: 304
    .language:       OpenCL C
    .language_version:
      - 2
      - 0
    .max_flat_workgroup_size: 1024
    .name:           _Z24kernel_normalize_weightsPfPKfS_S_Pii
    .private_segment_fixed_size: 0
    .sgpr_count:     28
    .sgpr_spill_count: 0
    .symbol:         _Z24kernel_normalize_weightsPfPKfS_S_Pii.kd
    .uniform_work_group_size: 1
    .uses_dynamic_stack: false
    .vgpr_count:     12
    .vgpr_spill_count: 0
    .wavefront_size: 64
  - .agpr_count:     0
    .args:
      - .address_space:  global
        .offset:         0
        .size:           8
        .value_kind:     global_buffer
      - .offset:         8
        .size:           4
        .value_kind:     by_value
    .group_segment_fixed_size: 0
    .kernarg_segment_align: 8
    .kernarg_segment_size: 12
    .language:       OpenCL C
    .language_version:
      - 2
      - 0
    .max_flat_workgroup_size: 1024
    .name:           _Z10kernel_sumPfi
    .private_segment_fixed_size: 0
    .sgpr_count:     12
    .sgpr_spill_count: 0
    .symbol:         _Z10kernel_sumPfi.kd
    .uniform_work_group_size: 1
    .uses_dynamic_stack: false
    .vgpr_count:     2
    .vgpr_spill_count: 0
    .wavefront_size: 64
amdhsa.target:   amdgcn-amd-amdhsa--gfx950
amdhsa.version:
  - 1
  - 2
...

	.end_amdgpu_metadata
